;; amdgpu-corpus repo=ROCm/rocFFT kind=compiled arch=gfx1030 opt=O3
	.text
	.amdgcn_target "amdgcn-amd-amdhsa--gfx1030"
	.amdhsa_code_object_version 6
	.protected	fft_rtc_back_len832_factors_13_2_2_2_2_2_2_wgs_104_tpt_104_halfLds_dp_ip_CI_unitstride_sbrr_C2R_dirReg ; -- Begin function fft_rtc_back_len832_factors_13_2_2_2_2_2_2_wgs_104_tpt_104_halfLds_dp_ip_CI_unitstride_sbrr_C2R_dirReg
	.globl	fft_rtc_back_len832_factors_13_2_2_2_2_2_2_wgs_104_tpt_104_halfLds_dp_ip_CI_unitstride_sbrr_C2R_dirReg
	.p2align	8
	.type	fft_rtc_back_len832_factors_13_2_2_2_2_2_2_wgs_104_tpt_104_halfLds_dp_ip_CI_unitstride_sbrr_C2R_dirReg,@function
fft_rtc_back_len832_factors_13_2_2_2_2_2_2_wgs_104_tpt_104_halfLds_dp_ip_CI_unitstride_sbrr_C2R_dirReg: ; @fft_rtc_back_len832_factors_13_2_2_2_2_2_2_wgs_104_tpt_104_halfLds_dp_ip_CI_unitstride_sbrr_C2R_dirReg
; %bb.0:
	s_clause 0x2
	s_load_dwordx4 s[8:11], s[4:5], 0x0
	s_load_dwordx2 s[2:3], s[4:5], 0x50
	s_load_dwordx2 s[12:13], s[4:5], 0x18
	v_mul_u32_u24_e32 v1, 0x277, v0
	v_mov_b32_e32 v3, 0
	v_add_nc_u32_sdwa v5, s6, v1 dst_sel:DWORD dst_unused:UNUSED_PAD src0_sel:DWORD src1_sel:WORD_1
	v_mov_b32_e32 v1, 0
	v_mov_b32_e32 v6, v3
	v_mov_b32_e32 v2, 0
	s_waitcnt lgkmcnt(0)
	v_cmp_lt_u64_e64 s0, s[10:11], 2
	s_and_b32 vcc_lo, exec_lo, s0
	s_cbranch_vccnz .LBB0_8
; %bb.1:
	s_load_dwordx2 s[0:1], s[4:5], 0x10
	v_mov_b32_e32 v1, 0
	s_add_u32 s6, s12, 8
	v_mov_b32_e32 v2, 0
	s_addc_u32 s7, s13, 0
	s_mov_b64 s[16:17], 1
	s_waitcnt lgkmcnt(0)
	s_add_u32 s14, s0, 8
	s_addc_u32 s15, s1, 0
.LBB0_2:                                ; =>This Inner Loop Header: Depth=1
	s_load_dwordx2 s[18:19], s[14:15], 0x0
                                        ; implicit-def: $vgpr7_vgpr8
	s_mov_b32 s0, exec_lo
	s_waitcnt lgkmcnt(0)
	v_or_b32_e32 v4, s19, v6
	v_cmpx_ne_u64_e32 0, v[3:4]
	s_xor_b32 s1, exec_lo, s0
	s_cbranch_execz .LBB0_4
; %bb.3:                                ;   in Loop: Header=BB0_2 Depth=1
	v_cvt_f32_u32_e32 v4, s18
	v_cvt_f32_u32_e32 v7, s19
	s_sub_u32 s0, 0, s18
	s_subb_u32 s20, 0, s19
	v_fmac_f32_e32 v4, 0x4f800000, v7
	v_rcp_f32_e32 v4, v4
	v_mul_f32_e32 v4, 0x5f7ffffc, v4
	v_mul_f32_e32 v7, 0x2f800000, v4
	v_trunc_f32_e32 v7, v7
	v_fmac_f32_e32 v4, 0xcf800000, v7
	v_cvt_u32_f32_e32 v7, v7
	v_cvt_u32_f32_e32 v4, v4
	v_mul_lo_u32 v8, s0, v7
	v_mul_hi_u32 v9, s0, v4
	v_mul_lo_u32 v10, s20, v4
	v_add_nc_u32_e32 v8, v9, v8
	v_mul_lo_u32 v9, s0, v4
	v_add_nc_u32_e32 v8, v8, v10
	v_mul_hi_u32 v10, v4, v9
	v_mul_lo_u32 v11, v4, v8
	v_mul_hi_u32 v12, v4, v8
	v_mul_hi_u32 v13, v7, v9
	v_mul_lo_u32 v9, v7, v9
	v_mul_hi_u32 v14, v7, v8
	v_mul_lo_u32 v8, v7, v8
	v_add_co_u32 v10, vcc_lo, v10, v11
	v_add_co_ci_u32_e32 v11, vcc_lo, 0, v12, vcc_lo
	v_add_co_u32 v9, vcc_lo, v10, v9
	v_add_co_ci_u32_e32 v9, vcc_lo, v11, v13, vcc_lo
	v_add_co_ci_u32_e32 v10, vcc_lo, 0, v14, vcc_lo
	v_add_co_u32 v8, vcc_lo, v9, v8
	v_add_co_ci_u32_e32 v9, vcc_lo, 0, v10, vcc_lo
	v_add_co_u32 v4, vcc_lo, v4, v8
	v_add_co_ci_u32_e32 v7, vcc_lo, v7, v9, vcc_lo
	v_mul_hi_u32 v8, s0, v4
	v_mul_lo_u32 v10, s20, v4
	v_mul_lo_u32 v9, s0, v7
	v_add_nc_u32_e32 v8, v8, v9
	v_mul_lo_u32 v9, s0, v4
	v_add_nc_u32_e32 v8, v8, v10
	v_mul_hi_u32 v10, v4, v9
	v_mul_lo_u32 v11, v4, v8
	v_mul_hi_u32 v12, v4, v8
	v_mul_hi_u32 v13, v7, v9
	v_mul_lo_u32 v9, v7, v9
	v_mul_hi_u32 v14, v7, v8
	v_mul_lo_u32 v8, v7, v8
	v_add_co_u32 v10, vcc_lo, v10, v11
	v_add_co_ci_u32_e32 v11, vcc_lo, 0, v12, vcc_lo
	v_add_co_u32 v9, vcc_lo, v10, v9
	v_add_co_ci_u32_e32 v9, vcc_lo, v11, v13, vcc_lo
	v_add_co_ci_u32_e32 v10, vcc_lo, 0, v14, vcc_lo
	v_add_co_u32 v8, vcc_lo, v9, v8
	v_add_co_ci_u32_e32 v9, vcc_lo, 0, v10, vcc_lo
	v_add_co_u32 v4, vcc_lo, v4, v8
	v_add_co_ci_u32_e32 v11, vcc_lo, v7, v9, vcc_lo
	v_mul_hi_u32 v13, v5, v4
	v_mad_u64_u32 v[9:10], null, v6, v4, 0
	v_mad_u64_u32 v[7:8], null, v5, v11, 0
	;; [unrolled: 1-line block ×3, first 2 shown]
	v_add_co_u32 v4, vcc_lo, v13, v7
	v_add_co_ci_u32_e32 v7, vcc_lo, 0, v8, vcc_lo
	v_add_co_u32 v4, vcc_lo, v4, v9
	v_add_co_ci_u32_e32 v4, vcc_lo, v7, v10, vcc_lo
	v_add_co_ci_u32_e32 v7, vcc_lo, 0, v12, vcc_lo
	v_add_co_u32 v4, vcc_lo, v4, v11
	v_add_co_ci_u32_e32 v9, vcc_lo, 0, v7, vcc_lo
	v_mul_lo_u32 v10, s19, v4
	v_mad_u64_u32 v[7:8], null, s18, v4, 0
	v_mul_lo_u32 v11, s18, v9
	v_sub_co_u32 v7, vcc_lo, v5, v7
	v_add3_u32 v8, v8, v11, v10
	v_sub_nc_u32_e32 v10, v6, v8
	v_subrev_co_ci_u32_e64 v10, s0, s19, v10, vcc_lo
	v_add_co_u32 v11, s0, v4, 2
	v_add_co_ci_u32_e64 v12, s0, 0, v9, s0
	v_sub_co_u32 v13, s0, v7, s18
	v_sub_co_ci_u32_e32 v8, vcc_lo, v6, v8, vcc_lo
	v_subrev_co_ci_u32_e64 v10, s0, 0, v10, s0
	v_cmp_le_u32_e32 vcc_lo, s18, v13
	v_cmp_eq_u32_e64 s0, s19, v8
	v_cndmask_b32_e64 v13, 0, -1, vcc_lo
	v_cmp_le_u32_e32 vcc_lo, s19, v10
	v_cndmask_b32_e64 v14, 0, -1, vcc_lo
	v_cmp_le_u32_e32 vcc_lo, s18, v7
	;; [unrolled: 2-line block ×3, first 2 shown]
	v_cndmask_b32_e64 v15, 0, -1, vcc_lo
	v_cmp_eq_u32_e32 vcc_lo, s19, v10
	v_cndmask_b32_e64 v7, v15, v7, s0
	v_cndmask_b32_e32 v10, v14, v13, vcc_lo
	v_add_co_u32 v13, vcc_lo, v4, 1
	v_add_co_ci_u32_e32 v14, vcc_lo, 0, v9, vcc_lo
	v_cmp_ne_u32_e32 vcc_lo, 0, v10
	v_cndmask_b32_e32 v8, v14, v12, vcc_lo
	v_cndmask_b32_e32 v10, v13, v11, vcc_lo
	v_cmp_ne_u32_e32 vcc_lo, 0, v7
	v_cndmask_b32_e32 v8, v9, v8, vcc_lo
	v_cndmask_b32_e32 v7, v4, v10, vcc_lo
.LBB0_4:                                ;   in Loop: Header=BB0_2 Depth=1
	s_andn2_saveexec_b32 s0, s1
	s_cbranch_execz .LBB0_6
; %bb.5:                                ;   in Loop: Header=BB0_2 Depth=1
	v_cvt_f32_u32_e32 v4, s18
	s_sub_i32 s1, 0, s18
	v_rcp_iflag_f32_e32 v4, v4
	v_mul_f32_e32 v4, 0x4f7ffffe, v4
	v_cvt_u32_f32_e32 v4, v4
	v_mul_lo_u32 v7, s1, v4
	v_mul_hi_u32 v7, v4, v7
	v_add_nc_u32_e32 v4, v4, v7
	v_mul_hi_u32 v4, v5, v4
	v_mul_lo_u32 v7, v4, s18
	v_add_nc_u32_e32 v8, 1, v4
	v_sub_nc_u32_e32 v7, v5, v7
	v_subrev_nc_u32_e32 v9, s18, v7
	v_cmp_le_u32_e32 vcc_lo, s18, v7
	v_cndmask_b32_e32 v7, v7, v9, vcc_lo
	v_cndmask_b32_e32 v4, v4, v8, vcc_lo
	v_cmp_le_u32_e32 vcc_lo, s18, v7
	v_add_nc_u32_e32 v8, 1, v4
	v_cndmask_b32_e32 v7, v4, v8, vcc_lo
	v_mov_b32_e32 v8, v3
.LBB0_6:                                ;   in Loop: Header=BB0_2 Depth=1
	s_or_b32 exec_lo, exec_lo, s0
	s_load_dwordx2 s[0:1], s[6:7], 0x0
	v_mul_lo_u32 v4, v8, s18
	v_mul_lo_u32 v11, v7, s19
	v_mad_u64_u32 v[9:10], null, v7, s18, 0
	s_add_u32 s16, s16, 1
	s_addc_u32 s17, s17, 0
	s_add_u32 s6, s6, 8
	s_addc_u32 s7, s7, 0
	;; [unrolled: 2-line block ×3, first 2 shown]
	v_add3_u32 v4, v10, v11, v4
	v_sub_co_u32 v5, vcc_lo, v5, v9
	v_sub_co_ci_u32_e32 v4, vcc_lo, v6, v4, vcc_lo
	s_waitcnt lgkmcnt(0)
	v_mul_lo_u32 v6, s1, v5
	v_mul_lo_u32 v4, s0, v4
	v_mad_u64_u32 v[1:2], null, s0, v5, v[1:2]
	v_cmp_ge_u64_e64 s0, s[16:17], s[10:11]
	s_and_b32 vcc_lo, exec_lo, s0
	v_add3_u32 v2, v6, v2, v4
	s_cbranch_vccnz .LBB0_9
; %bb.7:                                ;   in Loop: Header=BB0_2 Depth=1
	v_mov_b32_e32 v5, v7
	v_mov_b32_e32 v6, v8
	s_branch .LBB0_2
.LBB0_8:
	v_mov_b32_e32 v8, v6
	v_mov_b32_e32 v7, v5
.LBB0_9:
	s_lshl_b64 s[0:1], s[10:11], 3
	v_mul_hi_u32 v3, 0x2762763, v0
	s_add_u32 s0, s12, s0
	s_addc_u32 s1, s13, s1
	s_load_dwordx2 s[0:1], s[0:1], 0x0
	s_load_dwordx2 s[4:5], s[4:5], 0x20
	v_mul_u32_u24_e32 v3, 0x68, v3
	s_waitcnt lgkmcnt(0)
	v_mul_lo_u32 v4, s0, v8
	v_mul_lo_u32 v5, s1, v7
	v_mad_u64_u32 v[1:2], null, s0, v7, v[1:2]
	v_cmp_gt_u64_e32 vcc_lo, s[4:5], v[7:8]
	v_add3_u32 v2, v5, v2, v4
	v_sub_nc_u32_e32 v4, v0, v3
	v_mov_b32_e32 v5, 0
	v_lshlrev_b64 v[54:55], 4, v[1:2]
	v_mov_b32_e32 v52, v4
	s_and_saveexec_b32 s1, vcc_lo
	s_cbranch_execz .LBB0_13
; %bb.10:
	v_lshlrev_b64 v[0:1], 4, v[4:5]
	v_add_co_u32 v2, s0, s2, v54
	v_add_co_ci_u32_e64 v3, s0, s3, v55, s0
	v_lshl_add_u32 v38, v4, 4, 0
	v_add_co_u32 v0, s0, v2, v0
	v_add_co_ci_u32_e64 v1, s0, v3, v1, s0
	s_mov_b32 s4, exec_lo
	v_add_co_u32 v14, s0, 0x800, v0
	v_add_co_ci_u32_e64 v15, s0, 0, v1, s0
	v_add_co_u32 v18, s0, 0x1000, v0
	v_add_co_ci_u32_e64 v19, s0, 0, v1, s0
	v_add_co_u32 v22, s0, 0x1800, v0
	v_add_co_ci_u32_e64 v23, s0, 0, v1, s0
	v_add_co_u32 v30, s0, 0x2000, v0
	v_add_co_ci_u32_e64 v31, s0, 0, v1, s0
	s_clause 0x1
	global_load_dwordx4 v[6:9], v[0:1], off
	global_load_dwordx4 v[10:13], v[0:1], off offset:1664
	v_add_co_u32 v0, s0, 0x2800, v0
	v_add_co_ci_u32_e64 v1, s0, 0, v1, s0
	s_clause 0x5
	global_load_dwordx4 v[14:17], v[14:15], off offset:1280
	global_load_dwordx4 v[18:21], v[18:19], off offset:896
	;; [unrolled: 1-line block ×6, first 2 shown]
	v_mov_b32_e32 v0, v4
	v_mov_b32_e32 v1, v5
	s_waitcnt vmcnt(7)
	ds_write_b128 v38, v[6:9]
	s_waitcnt vmcnt(6)
	ds_write_b128 v38, v[10:13] offset:1664
	s_waitcnt vmcnt(5)
	ds_write_b128 v38, v[14:17] offset:3328
	;; [unrolled: 2-line block ×7, first 2 shown]
	v_cmpx_eq_u32_e32 0x67, v4
	s_cbranch_execz .LBB0_12
; %bb.11:
	v_add_co_u32 v0, s0, 0x3000, v2
	v_add_co_ci_u32_e64 v1, s0, 0, v3, s0
	v_mov_b32_e32 v2, 0
	v_mov_b32_e32 v4, 0x67
	global_load_dwordx4 v[5:8], v[0:1], off offset:1024
	v_mov_b32_e32 v0, 0x67
	v_mov_b32_e32 v1, 0
	s_waitcnt vmcnt(0)
	ds_write_b128 v2, v[5:8] offset:13312
.LBB0_12:
	s_or_b32 exec_lo, exec_lo, s4
	v_mov_b32_e32 v52, v4
	v_mov_b32_e32 v5, v1
	;; [unrolled: 1-line block ×3, first 2 shown]
.LBB0_13:
	s_or_b32 exec_lo, exec_lo, s1
	v_lshlrev_b32_e32 v0, 4, v52
	s_waitcnt lgkmcnt(0)
	s_barrier
	buffer_gl0_inv
	v_lshlrev_b64 v[58:59], 4, v[4:5]
	v_add_nc_u32_e32 v76, 0, v0
	v_sub_nc_u32_e32 v10, 0, v0
	s_add_u32 s1, s8, 0x3330
	s_addc_u32 s4, s9, 0
	s_mov_b32 s5, exec_lo
	ds_read_b64 v[6:7], v76
	ds_read_b64 v[8:9], v10 offset:13312
	s_waitcnt lgkmcnt(0)
	v_add_f64 v[0:1], v[6:7], v[8:9]
	v_add_f64 v[2:3], v[6:7], -v[8:9]
	v_cmpx_ne_u32_e32 0, v52
	s_xor_b32 s5, exec_lo, s5
	s_cbranch_execz .LBB0_15
; %bb.14:
	v_add_co_u32 v0, s0, s1, v58
	v_add_co_ci_u32_e64 v1, s0, s4, v59, s0
	v_add_f64 v[13:14], v[6:7], v[8:9]
	v_add_f64 v[8:9], v[6:7], -v[8:9]
	global_load_dwordx4 v[2:5], v[0:1], off
	ds_read_b64 v[0:1], v10 offset:13320
	ds_read_b64 v[11:12], v76 offset:8
	s_waitcnt lgkmcnt(0)
	v_add_f64 v[6:7], v[0:1], v[11:12]
	v_add_f64 v[0:1], v[11:12], -v[0:1]
	s_waitcnt vmcnt(0)
	v_fma_f64 v[11:12], v[8:9], v[4:5], v[13:14]
	v_fma_f64 v[13:14], -v[8:9], v[4:5], v[13:14]
	v_fma_f64 v[15:16], v[6:7], v[4:5], -v[0:1]
	v_fma_f64 v[17:18], v[6:7], v[4:5], v[0:1]
	v_fma_f64 v[0:1], -v[6:7], v[2:3], v[11:12]
	v_fma_f64 v[4:5], v[6:7], v[2:3], v[13:14]
	v_fma_f64 v[6:7], v[8:9], v[2:3], v[15:16]
	v_fma_f64 v[2:3], v[8:9], v[2:3], v[17:18]
	ds_write_b128 v10, v[4:7] offset:13312
.LBB0_15:
	s_andn2_saveexec_b32 s0, s5
	s_cbranch_execz .LBB0_17
; %bb.16:
	v_mov_b32_e32 v8, 0
	ds_read_b128 v[4:7], v8 offset:6656
	s_waitcnt lgkmcnt(0)
	v_add_f64 v[4:5], v[4:5], v[4:5]
	v_mul_f64 v[6:7], v[6:7], -2.0
	ds_write_b128 v8, v[4:7] offset:6656
.LBB0_17:
	s_or_b32 exec_lo, exec_lo, s0
	v_mov_b32_e32 v53, 0
	ds_write_b128 v76, v[0:3]
	s_mov_b32 s33, exec_lo
	v_lshlrev_b64 v[56:57], 4, v[52:53]
	v_add_co_u32 v8, s0, s1, v56
	v_add_co_ci_u32_e64 v9, s0, s4, v57, s0
	v_add_co_u32 v11, s0, 0x800, v8
	global_load_dwordx4 v[4:7], v[8:9], off offset:1664
	v_add_co_ci_u32_e64 v12, s0, 0, v9, s0
	v_add_co_u32 v8, s0, 0x1000, v8
	v_add_co_ci_u32_e64 v9, s0, 0, v9, s0
	s_clause 0x1
	global_load_dwordx4 v[11:14], v[11:12], off offset:1280
	global_load_dwordx4 v[15:18], v[8:9], off offset:896
	ds_read_b128 v[0:3], v76 offset:1664
	ds_read_b128 v[19:22], v10 offset:11648
	s_waitcnt lgkmcnt(0)
	v_add_f64 v[8:9], v[0:1], v[19:20]
	v_add_f64 v[23:24], v[21:22], v[2:3]
	v_add_f64 v[19:20], v[0:1], -v[19:20]
	v_add_f64 v[0:1], v[2:3], -v[21:22]
	s_waitcnt vmcnt(2)
	v_fma_f64 v[2:3], v[19:20], v[6:7], v[8:9]
	v_fma_f64 v[21:22], v[23:24], v[6:7], v[0:1]
	v_fma_f64 v[8:9], -v[19:20], v[6:7], v[8:9]
	v_fma_f64 v[25:26], v[23:24], v[6:7], -v[0:1]
	v_fma_f64 v[0:1], -v[23:24], v[4:5], v[2:3]
	v_fma_f64 v[2:3], v[19:20], v[4:5], v[21:22]
	v_fma_f64 v[6:7], v[23:24], v[4:5], v[8:9]
	v_fma_f64 v[8:9], v[19:20], v[4:5], v[25:26]
	ds_write_b128 v76, v[0:3] offset:1664
	ds_write_b128 v10, v[6:9] offset:11648
	ds_read_b128 v[0:3], v76 offset:3328
	ds_read_b128 v[4:7], v10 offset:9984
	s_waitcnt lgkmcnt(0)
	v_add_f64 v[8:9], v[0:1], v[4:5]
	v_add_f64 v[19:20], v[6:7], v[2:3]
	v_add_f64 v[21:22], v[0:1], -v[4:5]
	v_add_f64 v[0:1], v[2:3], -v[6:7]
	s_waitcnt vmcnt(1)
	v_fma_f64 v[2:3], v[21:22], v[13:14], v[8:9]
	v_fma_f64 v[4:5], v[19:20], v[13:14], v[0:1]
	v_fma_f64 v[6:7], -v[21:22], v[13:14], v[8:9]
	v_fma_f64 v[8:9], v[19:20], v[13:14], -v[0:1]
	v_fma_f64 v[0:1], -v[19:20], v[11:12], v[2:3]
	v_fma_f64 v[2:3], v[21:22], v[11:12], v[4:5]
	v_fma_f64 v[4:5], v[19:20], v[11:12], v[6:7]
	v_fma_f64 v[6:7], v[21:22], v[11:12], v[8:9]
	ds_write_b128 v76, v[0:3] offset:3328
	ds_write_b128 v10, v[4:7] offset:9984
	ds_read_b128 v[0:3], v76 offset:4992
	ds_read_b128 v[4:7], v10 offset:8320
	s_waitcnt lgkmcnt(0)
	v_add_f64 v[8:9], v[0:1], v[4:5]
	v_add_f64 v[11:12], v[6:7], v[2:3]
	v_add_f64 v[13:14], v[0:1], -v[4:5]
	v_add_f64 v[0:1], v[2:3], -v[6:7]
	s_waitcnt vmcnt(0)
	v_fma_f64 v[2:3], v[13:14], v[17:18], v[8:9]
	v_fma_f64 v[4:5], v[11:12], v[17:18], v[0:1]
	v_fma_f64 v[6:7], -v[13:14], v[17:18], v[8:9]
	v_fma_f64 v[8:9], v[11:12], v[17:18], -v[0:1]
	v_fma_f64 v[0:1], -v[11:12], v[15:16], v[2:3]
	v_fma_f64 v[2:3], v[13:14], v[15:16], v[4:5]
	v_fma_f64 v[4:5], v[11:12], v[15:16], v[6:7]
	v_fma_f64 v[6:7], v[13:14], v[15:16], v[8:9]
	ds_write_b128 v76, v[0:3] offset:4992
	ds_write_b128 v10, v[4:7] offset:8320
	s_waitcnt lgkmcnt(0)
	s_barrier
	buffer_gl0_inv
	s_barrier
	buffer_gl0_inv
	ds_read_b128 v[0:3], v76
	ds_read_b128 v[20:23], v76 offset:1024
	ds_read_b128 v[24:27], v76 offset:2048
	;; [unrolled: 1-line block ×12, first 2 shown]
	s_waitcnt lgkmcnt(0)
	s_barrier
	buffer_gl0_inv
	v_cmpx_gt_u32_e32 64, v52
	s_cbranch_execz .LBB0_19
; %bb.18:
	v_add_f64 v[60:61], v[2:3], v[22:23]
	v_add_f64 v[62:63], v[0:1], v[20:21]
	s_mov_b32 s10, 0x4bc48dbf
	s_mov_b32 s11, 0xbfcea1e5
	v_add_f64 v[66:67], v[36:37], -v[16:17]
	v_add_f64 v[64:65], v[38:39], v[18:19]
	v_add_f64 v[68:69], v[30:31], v[14:15]
	s_mov_b32 s0, 0x93053d00
	s_mov_b32 s12, 0x24c2f84
	;; [unrolled: 1-line block ×8, first 2 shown]
	v_add_f64 v[70:71], v[28:29], -v[12:13]
	s_mov_b32 s4, 0xe00740e9
	s_mov_b32 s6, 0xd0032e0c
	;; [unrolled: 1-line block ×6, first 2 shown]
	v_add_f64 v[60:61], v[60:61], v[26:27]
	v_add_f64 v[62:63], v[62:63], v[24:25]
	s_mov_b32 s21, 0xbfd6b1d8
	s_mov_b32 s23, 0x3fefc445
	;; [unrolled: 1-line block ×13, first 2 shown]
	v_mul_f64 v[85:86], v[70:71], s[12:13]
	v_mul_f64 v[101:102], v[70:71], s[28:29]
	s_mov_b32 s15, 0x3fe22d96
	s_mov_b32 s37, 0x3fcea1e5
	;; [unrolled: 1-line block ×5, first 2 shown]
	v_add_f64 v[60:61], v[60:61], v[30:31]
	v_add_f64 v[62:63], v[62:63], v[28:29]
	;; [unrolled: 1-line block ×6, first 2 shown]
	v_add_f64 v[38:39], v[38:39], -v[18:19]
	v_add_f64 v[60:61], v[60:61], v[42:43]
	v_add_f64 v[62:63], v[62:63], v[40:41]
	v_mul_f64 v[131:132], v[38:39], s[26:27]
	v_add_f64 v[60:61], v[60:61], v[46:47]
	v_add_f64 v[62:63], v[62:63], v[44:45]
	;; [unrolled: 1-line block ×4, first 2 shown]
	v_add_f64 v[62:63], v[44:45], -v[48:49]
	v_add_f64 v[60:61], v[46:47], v[50:51]
	v_add_f64 v[44:45], v[44:45], v[48:49]
	v_add_f64 v[48:49], v[46:47], -v[50:51]
	v_add_f64 v[50:51], v[40:41], -v[32:33]
	v_add_f64 v[46:47], v[42:43], v[34:35]
	v_add_f64 v[40:41], v[40:41], v[32:33]
	v_add_f64 v[42:43], v[42:43], -v[34:35]
	v_add_f64 v[77:78], v[72:73], v[34:35]
	v_add_f64 v[79:80], v[74:75], v[32:33]
	v_add_f64 v[74:75], v[20:21], -v[4:5]
	v_add_f64 v[72:73], v[22:23], v[6:7]
	v_add_f64 v[22:23], v[22:23], -v[6:7]
	v_add_f64 v[32:33], v[30:31], -v[14:15]
	;; [unrolled: 1-line block ×3, first 2 shown]
	v_add_f64 v[30:31], v[26:27], v[10:11]
	v_add_f64 v[26:27], v[26:27], -v[10:11]
	v_add_f64 v[20:21], v[20:21], v[4:5]
	v_add_f64 v[24:25], v[24:25], v[8:9]
	;; [unrolled: 1-line block ×4, first 2 shown]
	v_mul_f64 v[77:78], v[74:75], s[10:11]
	v_mul_f64 v[91:92], v[74:75], s[24:25]
	;; [unrolled: 1-line block ×14, first 2 shown]
	v_add_f64 v[14:15], v[18:19], v[14:15]
	v_add_f64 v[12:13], v[16:17], v[12:13]
	v_mul_f64 v[16:17], v[74:75], s[12:13]
	v_mul_f64 v[18:19], v[22:23], s[12:13]
	v_fma_f64 v[93:94], v[72:73], s[0:1], v[77:78]
	v_fma_f64 v[99:100], v[20:21], s[0:1], -v[79:80]
	v_fma_f64 v[77:78], v[72:73], s[0:1], -v[77:78]
	v_fma_f64 v[79:80], v[20:21], s[0:1], v[79:80]
	v_fma_f64 v[117:118], v[30:31], s[4:5], v[81:82]
	v_fma_f64 v[119:120], v[24:25], s[4:5], -v[83:84]
	v_fma_f64 v[121:122], v[72:73], s[20:21], v[91:92]
	v_fma_f64 v[123:124], v[20:21], s[20:21], -v[97:98]
	v_fma_f64 v[91:92], v[72:73], s[20:21], -v[91:92]
	v_fma_f64 v[97:98], v[20:21], s[20:21], v[97:98]
	v_fma_f64 v[81:82], v[30:31], s[4:5], -v[81:82]
	v_fma_f64 v[83:84], v[24:25], s[4:5], v[83:84]
	v_fma_f64 v[125:126], v[30:31], s[18:19], v[89:90]
	v_fma_f64 v[89:90], v[30:31], s[18:19], -v[89:90]
	v_add_f64 v[10:11], v[14:15], v[10:11]
	v_add_f64 v[8:9], v[12:13], v[8:9]
	v_mul_f64 v[14:15], v[22:23], s[34:35]
	v_fma_f64 v[111:112], v[72:73], s[6:7], v[16:17]
	v_fma_f64 v[115:116], v[20:21], s[6:7], -v[18:19]
	v_fma_f64 v[16:17], v[72:73], s[6:7], -v[16:17]
	v_fma_f64 v[18:19], v[20:21], s[6:7], v[18:19]
	v_add_f64 v[93:94], v[2:3], v[93:94]
	v_add_f64 v[99:100], v[0:1], v[99:100]
	v_mul_f64 v[12:13], v[34:35], s[10:11]
	v_add_f64 v[77:78], v[2:3], v[77:78]
	v_add_f64 v[79:80], v[0:1], v[79:80]
	;; [unrolled: 1-line block ×8, first 2 shown]
	v_fma_f64 v[8:9], v[72:73], s[18:19], v[107:108]
	v_fma_f64 v[10:11], v[24:25], s[18:19], -v[95:96]
	v_add_f64 v[111:112], v[2:3], v[111:112]
	v_fma_f64 v[127:128], v[20:21], s[18:19], -v[14:15]
	v_add_f64 v[115:116], v[0:1], v[115:116]
	v_fma_f64 v[95:96], v[24:25], s[18:19], v[95:96]
	v_add_f64 v[16:17], v[2:3], v[16:17]
	v_add_f64 v[18:19], v[0:1], v[18:19]
	v_add_f64 v[93:94], v[117:118], v[93:94]
	v_fma_f64 v[117:118], v[30:31], s[6:7], v[105:106]
	v_add_f64 v[99:100], v[119:120], v[99:100]
	v_fma_f64 v[119:120], v[24:25], s[6:7], -v[109:110]
	v_fma_f64 v[105:106], v[30:31], s[6:7], -v[105:106]
	v_fma_f64 v[109:110], v[24:25], s[6:7], v[109:110]
	v_add_f64 v[77:78], v[81:82], v[77:78]
	v_mul_f64 v[81:82], v[70:71], s[26:27]
	v_add_f64 v[79:80], v[83:84], v[79:80]
	v_fma_f64 v[83:84], v[30:31], s[0:1], v[12:13]
	v_fma_f64 v[107:108], v[72:73], s[18:19], -v[107:108]
	v_fma_f64 v[12:13], v[30:31], s[0:1], -v[12:13]
	v_fma_f64 v[14:15], v[20:21], s[18:19], v[14:15]
	v_add_f64 v[8:9], v[2:3], v[8:9]
	v_add_f64 v[111:112], v[125:126], v[111:112]
	v_fma_f64 v[125:126], v[24:25], s[0:1], -v[113:114]
	v_add_f64 v[127:128], v[0:1], v[127:128]
	v_add_f64 v[10:11], v[10:11], v[115:116]
	v_fma_f64 v[115:116], v[68:69], s[6:7], v[85:86]
	v_add_f64 v[16:17], v[89:90], v[16:17]
	v_fma_f64 v[89:90], v[28:29], s[6:7], -v[87:88]
	v_add_f64 v[18:19], v[95:96], v[18:19]
	v_mul_f64 v[95:96], v[32:33], s[26:27]
	v_add_f64 v[119:120], v[119:120], v[123:124]
	v_mul_f64 v[123:124], v[38:39], s[16:17]
	v_add_f64 v[91:92], v[105:106], v[91:92]
	v_fma_f64 v[105:106], v[68:69], s[14:15], v[101:102]
	v_add_f64 v[97:98], v[109:110], v[97:98]
	v_fma_f64 v[109:110], v[28:29], s[14:15], -v[103:104]
	v_add_f64 v[117:118], v[117:118], v[121:122]
	v_mul_f64 v[121:122], v[66:67], s[16:17]
	v_fma_f64 v[85:86], v[68:69], s[6:7], -v[85:86]
	v_fma_f64 v[87:88], v[28:29], s[6:7], v[87:88]
	v_fma_f64 v[101:102], v[68:69], s[14:15], -v[101:102]
	v_add_f64 v[83:84], v[83:84], v[8:9]
	v_mul_f64 v[8:9], v[66:67], s[36:37]
	v_fma_f64 v[103:104], v[28:29], s[14:15], v[103:104]
	v_add_f64 v[107:108], v[2:3], v[107:108]
	v_add_f64 v[125:126], v[125:126], v[127:128]
	v_mul_f64 v[127:128], v[38:39], s[36:37]
	v_add_f64 v[93:94], v[115:116], v[93:94]
	v_fma_f64 v[115:116], v[68:69], s[4:5], v[81:82]
	v_add_f64 v[89:90], v[89:90], v[99:100]
	v_fma_f64 v[81:82], v[68:69], s[4:5], -v[81:82]
	v_fma_f64 v[99:100], v[28:29], s[4:5], -v[95:96]
	v_fma_f64 v[95:96], v[28:29], s[4:5], v[95:96]
	v_fma_f64 v[113:114], v[24:25], s[0:1], v[113:114]
	v_add_f64 v[14:15], v[0:1], v[14:15]
	v_add_f64 v[105:106], v[105:106], v[111:112]
	v_fma_f64 v[111:112], v[36:37], s[14:15], -v[123:124]
	v_add_f64 v[10:11], v[109:110], v[10:11]
	v_mul_f64 v[109:110], v[38:39], s[34:35]
	v_fma_f64 v[123:124], v[36:37], s[14:15], v[123:124]
	v_add_f64 v[77:78], v[85:86], v[77:78]
	v_mul_f64 v[85:86], v[66:67], s[34:35]
	v_add_f64 v[79:80], v[87:88], v[79:80]
	v_fma_f64 v[87:88], v[64:65], s[14:15], v[121:122]
	v_fma_f64 v[121:122], v[64:65], s[14:15], -v[121:122]
	v_add_f64 v[16:17], v[101:102], v[16:17]
	v_mul_f64 v[101:102], v[50:51], s[24:25]
	v_add_f64 v[18:19], v[103:104], v[18:19]
	v_fma_f64 v[103:104], v[64:65], s[0:1], v[8:9]
	v_fma_f64 v[8:9], v[64:65], s[0:1], -v[8:9]
	v_add_f64 v[115:116], v[115:116], v[117:118]
	v_fma_f64 v[117:118], v[36:37], s[0:1], -v[127:128]
	v_add_f64 v[81:82], v[81:82], v[91:92]
	v_add_f64 v[99:100], v[99:100], v[119:120]
	v_mul_f64 v[119:120], v[42:43], s[24:25]
	v_mul_f64 v[91:92], v[50:51], s[26:27]
	v_fma_f64 v[127:128], v[36:37], s[0:1], v[127:128]
	v_add_f64 v[95:96], v[95:96], v[97:98]
	v_add_f64 v[89:90], v[111:112], v[89:90]
	;; [unrolled: 1-line block ×3, first 2 shown]
	v_fma_f64 v[111:112], v[36:37], s[18:19], -v[109:110]
	v_fma_f64 v[109:110], v[36:37], s[18:19], v[109:110]
	v_mul_f64 v[107:108], v[42:43], s[28:29]
	v_fma_f64 v[97:98], v[64:65], s[18:19], v[85:86]
	v_fma_f64 v[85:86], v[64:65], s[18:19], -v[85:86]
	v_add_f64 v[87:88], v[87:88], v[93:94]
	v_mul_f64 v[93:94], v[42:43], s[26:27]
	v_add_f64 v[77:78], v[121:122], v[77:78]
	v_mul_f64 v[121:122], v[62:63], s[22:23]
	v_add_f64 v[79:80], v[123:124], v[79:80]
	v_fma_f64 v[123:124], v[46:47], s[20:21], v[101:102]
	v_add_f64 v[103:104], v[103:104], v[105:106]
	v_mul_f64 v[105:106], v[48:49], s[22:23]
	v_add_f64 v[10:11], v[117:118], v[10:11]
	v_fma_f64 v[101:102], v[46:47], s[20:21], -v[101:102]
	v_add_f64 v[8:9], v[8:9], v[16:17]
	v_fma_f64 v[117:118], v[40:41], s[20:21], -v[119:120]
	v_mul_f64 v[16:17], v[70:71], s[38:39]
	v_fma_f64 v[119:120], v[40:41], s[20:21], v[119:120]
	v_add_f64 v[18:19], v[127:128], v[18:19]
	v_fma_f64 v[127:128], v[46:47], s[4:5], v[91:92]
	v_fma_f64 v[91:92], v[46:47], s[4:5], -v[91:92]
	v_add_f64 v[99:100], v[111:112], v[99:100]
	v_mul_f64 v[111:112], v[32:33], s[38:39]
	v_add_f64 v[95:96], v[109:110], v[95:96]
	v_add_f64 v[97:98], v[97:98], v[115:116]
	;; [unrolled: 1-line block ×3, first 2 shown]
	v_mul_f64 v[85:86], v[50:51], s[36:37]
	v_fma_f64 v[115:116], v[40:41], s[4:5], -v[93:94]
	v_fma_f64 v[93:94], v[40:41], s[4:5], v[93:94]
	v_mul_f64 v[109:110], v[50:51], s[28:29]
	v_add_f64 v[14:15], v[113:114], v[14:15]
	v_add_f64 v[87:88], v[123:124], v[87:88]
	v_mul_f64 v[123:124], v[42:43], s[36:37]
	v_mul_f64 v[113:114], v[62:63], s[26:27]
	v_add_f64 v[77:78], v[101:102], v[77:78]
	v_fma_f64 v[101:102], v[44:45], s[18:19], -v[105:106]
	v_add_f64 v[89:90], v[117:118], v[89:90]
	v_fma_f64 v[117:118], v[60:61], s[18:19], v[121:122]
	v_add_f64 v[79:80], v[119:120], v[79:80]
	v_mul_f64 v[119:120], v[66:67], s[26:27]
	v_add_f64 v[103:104], v[127:128], v[103:104]
	v_fma_f64 v[127:128], v[68:69], s[20:21], v[16:17]
	v_add_f64 v[91:92], v[91:92], v[8:9]
	v_fma_f64 v[129:130], v[28:29], s[20:21], -v[111:112]
	v_fma_f64 v[16:17], v[68:69], s[20:21], -v[16:17]
	v_fma_f64 v[111:112], v[28:29], s[20:21], v[111:112]
	v_add_f64 v[115:116], v[115:116], v[10:11]
	v_add_f64 v[93:94], v[93:94], v[18:19]
	v_fma_f64 v[18:19], v[46:47], s[0:1], v[85:86]
	v_fma_f64 v[85:86], v[46:47], s[0:1], -v[85:86]
	v_add_f64 v[8:9], v[101:102], v[89:90]
	v_add_f64 v[10:11], v[117:118], v[87:88]
	v_fma_f64 v[87:88], v[40:41], s[0:1], -v[123:124]
	v_mul_f64 v[89:90], v[74:75], s[28:29]
	v_fma_f64 v[101:102], v[64:65], s[4:5], v[119:120]
	v_add_f64 v[83:84], v[127:128], v[83:84]
	v_fma_f64 v[123:124], v[40:41], s[0:1], v[123:124]
	v_add_f64 v[117:118], v[129:130], v[125:126]
	v_fma_f64 v[125:126], v[36:37], s[4:5], -v[131:132]
	v_add_f64 v[12:13], v[16:17], v[12:13]
	v_fma_f64 v[16:17], v[64:65], s[4:5], -v[119:120]
	v_mul_f64 v[119:120], v[48:49], s[26:27]
	s_mov_b32 s27, 0xbfddbe06
	v_add_f64 v[14:15], v[111:112], v[14:15]
	v_add_f64 v[97:98], v[18:19], v[97:98]
	v_add_f64 v[81:82], v[85:86], v[81:82]
	v_mul_f64 v[85:86], v[34:35], s[24:25]
	v_mul_f64 v[74:75], v[74:75], s[26:27]
	;; [unrolled: 1-line block ×3, first 2 shown]
	v_fma_f64 v[127:128], v[36:37], s[4:5], v[131:132]
	v_add_f64 v[87:88], v[87:88], v[99:100]
	v_fma_f64 v[18:19], v[72:73], s[14:15], v[89:90]
	v_fma_f64 v[99:100], v[46:47], s[14:15], v[109:110]
	v_add_f64 v[83:84], v[101:102], v[83:84]
	v_add_f64 v[95:96], v[123:124], v[95:96]
	v_fma_f64 v[89:90], v[72:73], s[14:15], -v[89:90]
	v_add_f64 v[101:102], v[125:126], v[117:118]
	v_fma_f64 v[117:118], v[40:41], s[14:15], -v[107:108]
	v_mul_f64 v[125:126], v[22:23], s[28:29]
	v_mul_f64 v[22:23], v[22:23], s[26:27]
	v_add_f64 v[12:13], v[16:17], v[12:13]
	v_mul_f64 v[16:17], v[70:71], s[10:11]
	v_mul_f64 v[70:71], v[70:71], s[34:35]
	v_fma_f64 v[109:110], v[46:47], s[14:15], -v[109:110]
	v_fma_f64 v[123:124], v[30:31], s[20:21], v[85:86]
	v_fma_f64 v[111:112], v[72:73], s[4:5], v[74:75]
	v_fma_f64 v[72:73], v[72:73], s[4:5], -v[74:75]
	v_fma_f64 v[85:86], v[30:31], s[20:21], -v[85:86]
	v_add_f64 v[14:15], v[127:128], v[14:15]
	v_fma_f64 v[107:108], v[40:41], s[14:15], v[107:108]
	v_add_f64 v[18:19], v[2:3], v[18:19]
	v_add_f64 v[83:84], v[99:100], v[83:84]
	v_add_f64 v[89:90], v[2:3], v[89:90]
	v_add_f64 v[99:100], v[117:118], v[101:102]
	v_fma_f64 v[101:102], v[20:21], s[14:15], -v[125:126]
	v_mul_f64 v[117:118], v[26:27], s[24:25]
	v_fma_f64 v[125:126], v[20:21], s[14:15], v[125:126]
	v_mul_f64 v[26:27], v[26:27], s[28:29]
	v_add_f64 v[111:112], v[2:3], v[111:112]
	v_add_f64 v[2:3], v[2:3], v[72:73]
	v_fma_f64 v[72:73], v[30:31], s[14:15], -v[34:35]
	v_fma_f64 v[30:31], v[30:31], s[14:15], v[34:35]
	v_mul_f64 v[34:35], v[62:63], s[24:25]
	v_add_f64 v[18:19], v[123:124], v[18:19]
	v_fma_f64 v[123:124], v[20:21], s[4:5], -v[22:23]
	v_fma_f64 v[20:21], v[20:21], s[4:5], v[22:23]
	v_add_f64 v[22:23], v[0:1], v[101:102]
	v_fma_f64 v[74:75], v[24:25], s[20:21], -v[117:118]
	v_add_f64 v[101:102], v[0:1], v[125:126]
	v_mul_f64 v[125:126], v[32:33], s[10:11]
	v_fma_f64 v[117:118], v[24:25], s[20:21], v[117:118]
	v_mul_f64 v[32:33], v[32:33], s[34:35]
	v_add_f64 v[2:3], v[72:73], v[2:3]
	v_add_f64 v[30:31], v[30:31], v[111:112]
	v_mul_f64 v[111:112], v[50:51], s[22:23]
	v_mul_f64 v[50:51], v[50:51], s[12:13]
	v_add_f64 v[123:124], v[0:1], v[123:124]
	v_add_f64 v[0:1], v[0:1], v[20:21]
	v_fma_f64 v[20:21], v[68:69], s[0:1], v[16:17]
	v_fma_f64 v[16:17], v[68:69], s[0:1], -v[16:17]
	v_add_f64 v[22:23], v[74:75], v[22:23]
	v_add_f64 v[74:75], v[85:86], v[89:90]
	v_fma_f64 v[85:86], v[24:25], s[14:15], v[26:27]
	v_fma_f64 v[24:25], v[24:25], s[14:15], -v[26:27]
	v_fma_f64 v[89:90], v[28:29], s[0:1], -v[125:126]
	v_add_f64 v[101:102], v[117:118], v[101:102]
	v_mul_f64 v[117:118], v[66:67], s[30:31]
	v_fma_f64 v[125:126], v[28:29], s[0:1], v[125:126]
	v_mul_f64 v[26:27], v[38:39], s[30:31]
	v_mul_f64 v[66:67], v[66:67], s[24:25]
	v_fma_f64 v[72:73], v[28:29], s[18:19], v[32:33]
	v_mul_f64 v[38:39], v[38:39], s[24:25]
	v_fma_f64 v[28:29], v[28:29], s[18:19], -v[32:33]
	v_add_f64 v[18:19], v[20:21], v[18:19]
	v_fma_f64 v[20:21], v[68:69], s[18:19], -v[70:71]
	v_fma_f64 v[68:69], v[68:69], s[18:19], v[70:71]
	v_mul_f64 v[70:71], v[48:49], s[24:25]
	v_add_f64 v[16:17], v[16:17], v[74:75]
	v_add_f64 v[0:1], v[85:86], v[0:1]
	;; [unrolled: 1-line block ×4, first 2 shown]
	v_fma_f64 v[74:75], v[60:61], s[18:19], -v[121:122]
	v_fma_f64 v[85:86], v[64:65], s[6:7], v[117:118]
	v_add_f64 v[101:102], v[125:126], v[101:102]
	v_fma_f64 v[32:33], v[36:37], s[6:7], -v[26:27]
	v_mul_f64 v[121:122], v[42:43], s[22:23]
	v_fma_f64 v[117:118], v[64:65], s[6:7], -v[117:118]
	v_fma_f64 v[26:27], v[36:37], s[6:7], v[26:27]
	v_mul_f64 v[42:43], v[42:43], s[12:13]
	v_fma_f64 v[89:90], v[44:45], s[18:19], v[105:106]
	v_fma_f64 v[105:106], v[60:61], s[20:21], v[34:35]
	v_fma_f64 v[34:35], v[60:61], s[20:21], -v[34:35]
	v_fma_f64 v[125:126], v[44:45], s[4:5], v[119:120]
	v_fma_f64 v[119:120], v[44:45], s[4:5], -v[119:120]
	v_add_f64 v[2:3], v[20:21], v[2:3]
	v_fma_f64 v[20:21], v[64:65], s[20:21], -v[66:67]
	v_fma_f64 v[64:65], v[64:65], s[20:21], v[66:67]
	v_add_f64 v[30:31], v[68:69], v[30:31]
	v_mul_f64 v[68:69], v[48:49], s[16:17]
	v_fma_f64 v[66:67], v[44:45], s[20:21], -v[70:71]
	v_add_f64 v[0:1], v[72:73], v[0:1]
	v_fma_f64 v[72:73], v[36:37], s[20:21], v[38:39]
	v_fma_f64 v[36:37], v[36:37], s[20:21], -v[38:39]
	v_add_f64 v[24:25], v[28:29], v[24:25]
	v_add_f64 v[18:19], v[85:86], v[18:19]
	v_mul_f64 v[85:86], v[62:63], s[16:17]
	v_mul_f64 v[38:39], v[62:63], s[12:13]
	v_add_f64 v[22:23], v[32:33], v[22:23]
	v_add_f64 v[16:17], v[117:118], v[16:17]
	v_fma_f64 v[28:29], v[46:47], s[18:19], -v[111:112]
	v_add_f64 v[26:27], v[26:27], v[101:102]
	v_fma_f64 v[32:33], v[40:41], s[18:19], v[121:122]
	v_mul_f64 v[62:63], v[62:63], s[10:11]
	v_mul_f64 v[101:102], v[48:49], s[10:11]
	;; [unrolled: 1-line block ×3, first 2 shown]
	v_fma_f64 v[111:112], v[46:47], s[18:19], v[111:112]
	v_fma_f64 v[121:122], v[40:41], s[18:19], -v[121:122]
	v_add_f64 v[2:3], v[20:21], v[2:3]
	v_fma_f64 v[20:21], v[46:47], s[6:7], -v[50:51]
	v_fma_f64 v[46:47], v[46:47], s[6:7], v[50:51]
	v_add_f64 v[30:31], v[64:65], v[30:31]
	v_add_f64 v[64:65], v[107:108], v[14:15]
	v_fma_f64 v[50:51], v[44:45], s[14:15], -v[68:69]
	v_add_f64 v[0:1], v[72:73], v[0:1]
	v_fma_f64 v[72:73], v[40:41], s[6:7], v[42:43]
	v_fma_f64 v[40:41], v[40:41], s[6:7], -v[42:43]
	v_add_f64 v[24:25], v[36:37], v[24:25]
	v_add_f64 v[36:37], v[109:110], v[12:13]
	v_fma_f64 v[42:43], v[60:61], s[6:7], v[38:39]
	v_fma_f64 v[38:39], v[60:61], s[6:7], -v[38:39]
	v_fma_f64 v[117:118], v[60:61], s[14:15], v[85:86]
	v_add_f64 v[28:29], v[28:29], v[16:17]
	v_fma_f64 v[85:86], v[60:61], s[14:15], -v[85:86]
	v_add_f64 v[107:108], v[32:33], v[26:27]
	v_fma_f64 v[32:33], v[60:61], s[4:5], -v[113:114]
	v_fma_f64 v[109:110], v[60:61], s[0:1], -v[62:63]
	v_fma_f64 v[123:124], v[44:45], s[0:1], v[101:102]
	v_fma_f64 v[127:128], v[44:45], s[6:7], v[48:49]
	;; [unrolled: 1-line block ×4, first 2 shown]
	v_add_f64 v[20:21], v[20:21], v[2:3]
	v_fma_f64 v[48:49], v[44:45], s[6:7], -v[48:49]
	v_add_f64 v[111:112], v[111:112], v[18:19]
	v_add_f64 v[121:122], v[121:122], v[22:23]
	v_fma_f64 v[113:114], v[60:61], s[4:5], v[113:114]
	v_fma_f64 v[60:61], v[60:61], s[0:1], v[62:63]
	v_add_f64 v[72:73], v[72:73], v[0:1]
	v_add_f64 v[62:63], v[46:47], v[30:31]
	v_fma_f64 v[101:102], v[44:45], s[0:1], -v[101:102]
	v_add_f64 v[129:130], v[40:41], v[24:25]
	v_add_f64 v[18:19], v[34:35], v[91:92]
	;; [unrolled: 1-line block ×23, first 2 shown]
	v_mad_u32_u24 v60, 0xc0, v52, v76
	ds_write_b128 v60, v[4:7]
	ds_write_b128 v60, v[32:35] offset:16
	ds_write_b128 v60, v[28:31] offset:32
	;; [unrolled: 1-line block ×12, first 2 shown]
.LBB0_19:
	s_or_b32 exec_lo, exec_lo, s33
	v_add_nc_u16 v5, v52, 0x68
	v_and_b32_e32 v1, 0xff, v52
	v_add_nc_u32_e32 v0, 0xd0, v52
	v_mov_b32_e32 v2, 0x4ec5
	s_waitcnt lgkmcnt(0)
	v_and_b32_e32 v3, 0xff, v5
	v_mul_lo_u16 v51, 0x4f, v1
	v_add_nc_u32_e32 v1, 0x138, v52
	v_mul_u32_u24_sdwa v4, v0, v2 dst_sel:DWORD dst_unused:UNUSED_PAD src0_sel:WORD_0 src1_sel:DWORD
	s_barrier
	v_mul_lo_u16 v6, 0x4f, v3
	v_lshrrev_b16 v64, 10, v51
	v_mul_u32_u24_sdwa v3, v1, v2 dst_sel:DWORD dst_unused:UNUSED_PAD src0_sel:WORD_0 src1_sel:DWORD
	v_lshrrev_b32_e32 v65, 18, v4
	v_mov_b32_e32 v2, 4
	v_lshrrev_b16 v66, 10, v6
	v_mul_lo_u16 v7, v64, 13
	v_lshrrev_b32_e32 v67, 18, v3
	v_mul_lo_u16 v8, v65, 13
	buffer_gl0_inv
	v_mul_lo_u16 v9, v66, 13
	v_sub_nc_u16 v7, v52, v7
	v_mul_lo_u16 v10, v67, 13
	v_sub_nc_u16 v8, v0, v8
	v_lshrrev_b16 v51, 11, v51
	v_sub_nc_u16 v9, v5, v9
	v_lshlrev_b32_sdwa v68, v2, v7 dst_sel:DWORD dst_unused:UNUSED_PAD src0_sel:DWORD src1_sel:BYTE_0
	v_sub_nc_u16 v11, v1, v10
	v_lshlrev_b32_sdwa v69, v2, v8 dst_sel:DWORD dst_unused:UNUSED_PAD src0_sel:DWORD src1_sel:WORD_0
	v_lshrrev_b32_e32 v72, 19, v4
	v_lshlrev_b32_sdwa v70, v2, v9 dst_sel:DWORD dst_unused:UNUSED_PAD src0_sel:DWORD src1_sel:BYTE_0
	global_load_dwordx4 v[7:10], v68, s[8:9]
	v_lshlrev_b32_sdwa v71, v2, v11 dst_sel:DWORD dst_unused:UNUSED_PAD src0_sel:DWORD src1_sel:WORD_0
	v_lshrrev_b32_e32 v73, 19, v3
	s_clause 0x2
	global_load_dwordx4 v[11:14], v69, s[8:9]
	global_load_dwordx4 v[15:18], v70, s[8:9]
	;; [unrolled: 1-line block ×3, first 2 shown]
	ds_read_b128 v[23:26], v76 offset:6656
	ds_read_b128 v[27:30], v76 offset:9984
	ds_read_b128 v[31:34], v76 offset:8320
	ds_read_b128 v[35:38], v76 offset:11648
	ds_read_b128 v[39:42], v76
	ds_read_b128 v[43:46], v76 offset:1664
	v_cmp_gt_u32_e64 s0, 52, v52
	s_waitcnt vmcnt(3) lgkmcnt(5)
	v_mul_f64 v[47:48], v[25:26], v[9:10]
	v_mul_f64 v[9:10], v[23:24], v[9:10]
	s_waitcnt vmcnt(2) lgkmcnt(4)
	v_mul_f64 v[49:50], v[29:30], v[13:14]
	s_waitcnt vmcnt(1) lgkmcnt(3)
	v_mul_f64 v[60:61], v[33:34], v[17:18]
	v_mul_f64 v[17:18], v[31:32], v[17:18]
	;; [unrolled: 1-line block ×3, first 2 shown]
	s_waitcnt vmcnt(0) lgkmcnt(2)
	v_mul_f64 v[62:63], v[37:38], v[21:22]
	v_mul_f64 v[21:22], v[35:36], v[21:22]
	v_fma_f64 v[23:24], v[23:24], v[7:8], v[47:48]
	v_fma_f64 v[25:26], v[25:26], v[7:8], -v[9:10]
	v_fma_f64 v[27:28], v[27:28], v[11:12], v[49:50]
	v_fma_f64 v[31:32], v[31:32], v[15:16], v[60:61]
	v_fma_f64 v[33:34], v[33:34], v[15:16], -v[17:18]
	v_fma_f64 v[29:30], v[29:30], v[11:12], -v[13:14]
	ds_read_b128 v[7:10], v76 offset:3328
	ds_read_b128 v[11:14], v76 offset:4992
	v_fma_f64 v[35:36], v[35:36], v[19:20], v[62:63]
	v_fma_f64 v[37:38], v[37:38], v[19:20], -v[21:22]
	v_mov_b32_e32 v47, 0x1a0
	v_mul_lo_u16 v60, v72, 26
	v_mul_lo_u16 v61, v73, 26
	v_mul_u32_u24_e32 v49, 0x1a0, v65
	v_mul_u32_u24_e32 v50, 0x1a0, v67
	v_mul_u32_u24_sdwa v48, v64, v47 dst_sel:DWORD dst_unused:UNUSED_PAD src0_sel:WORD_0 src1_sel:DWORD
	v_lshrrev_b16 v64, 11, v6
	s_waitcnt lgkmcnt(0)
	s_barrier
	buffer_gl0_inv
	v_add_f64 v[15:16], v[39:40], -v[23:24]
	v_add_f64 v[17:18], v[41:42], -v[25:26]
	;; [unrolled: 1-line block ×6, first 2 shown]
	v_mul_lo_u16 v31, v51, 26
	v_add_f64 v[27:28], v[11:12], -v[35:36]
	v_add_f64 v[29:30], v[13:14], -v[37:38]
	v_sub_nc_u16 v62, v52, v31
	v_lshlrev_b32_sdwa v65, v2, v62 dst_sel:DWORD dst_unused:UNUSED_PAD src0_sel:DWORD src1_sel:BYTE_0
	v_fma_f64 v[31:32], v[39:40], 2.0, -v[15:16]
	v_fma_f64 v[33:34], v[41:42], 2.0, -v[17:18]
	v_mul_lo_u16 v39, v64, 26
	v_fma_f64 v[35:36], v[43:44], 2.0, -v[23:24]
	v_fma_f64 v[37:38], v[45:46], 2.0, -v[25:26]
	;; [unrolled: 1-line block ×4, first 2 shown]
	v_sub_nc_u16 v40, v0, v60
	v_fma_f64 v[11:12], v[11:12], 2.0, -v[27:28]
	v_fma_f64 v[13:14], v[13:14], 2.0, -v[29:30]
	v_mul_u32_u24_sdwa v41, v66, v47 dst_sel:DWORD dst_unused:UNUSED_PAD src0_sel:WORD_0 src1_sel:DWORD
	v_sub_nc_u16 v39, v5, v39
	v_sub_nc_u16 v42, v1, v61
	v_lshlrev_b32_sdwa v66, v2, v40 dst_sel:DWORD dst_unused:UNUSED_PAD src0_sel:DWORD src1_sel:WORD_0
	v_add3_u32 v40, 0, v48, v68
	v_add3_u32 v43, 0, v49, v69
	v_lshlrev_b32_sdwa v67, v2, v39 dst_sel:DWORD dst_unused:UNUSED_PAD src0_sel:DWORD src1_sel:BYTE_0
	v_add3_u32 v39, 0, v41, v70
	v_add3_u32 v44, 0, v50, v71
	v_lshlrev_b32_sdwa v68, v2, v42 dst_sel:DWORD dst_unused:UNUSED_PAD src0_sel:DWORD src1_sel:WORD_0
	ds_write_b128 v40, v[15:18] offset:208
	ds_write_b128 v40, v[31:34]
	ds_write_b128 v39, v[23:26] offset:208
	ds_write_b128 v39, v[35:38]
	ds_write_b128 v43, v[7:10]
	ds_write_b128 v43, v[19:22] offset:208
	ds_write_b128 v44, v[11:14]
	ds_write_b128 v44, v[27:30] offset:208
	s_waitcnt lgkmcnt(0)
	s_barrier
	buffer_gl0_inv
	s_clause 0x3
	global_load_dwordx4 v[7:10], v65, s[8:9] offset:208
	global_load_dwordx4 v[11:14], v67, s[8:9] offset:208
	;; [unrolled: 1-line block ×4, first 2 shown]
	ds_read_b128 v[23:26], v76 offset:6656
	ds_read_b128 v[27:30], v76 offset:8320
	;; [unrolled: 1-line block ×4, first 2 shown]
	ds_read_b128 v[39:42], v76
	ds_read_b128 v[43:46], v76 offset:1664
	s_waitcnt vmcnt(2) lgkmcnt(4)
	v_mul_f64 v[49:50], v[29:30], v[13:14]
	v_mul_f64 v[47:48], v[25:26], v[9:10]
	;; [unrolled: 1-line block ×4, first 2 shown]
	s_waitcnt vmcnt(1) lgkmcnt(3)
	v_mul_f64 v[60:61], v[33:34], v[17:18]
	v_mul_f64 v[17:18], v[31:32], v[17:18]
	s_waitcnt vmcnt(0) lgkmcnt(2)
	v_mul_f64 v[62:63], v[37:38], v[21:22]
	v_mul_f64 v[21:22], v[35:36], v[21:22]
	v_fma_f64 v[27:28], v[27:28], v[11:12], v[49:50]
	v_fma_f64 v[23:24], v[23:24], v[7:8], v[47:48]
	v_fma_f64 v[25:26], v[25:26], v[7:8], -v[9:10]
	v_fma_f64 v[29:30], v[29:30], v[11:12], -v[13:14]
	v_fma_f64 v[31:32], v[31:32], v[15:16], v[60:61]
	v_fma_f64 v[33:34], v[33:34], v[15:16], -v[17:18]
	v_fma_f64 v[35:36], v[35:36], v[19:20], v[62:63]
	ds_read_b128 v[7:10], v76 offset:3328
	ds_read_b128 v[11:14], v76 offset:4992
	v_fma_f64 v[37:38], v[37:38], v[19:20], -v[21:22]
	v_subrev_nc_u32_e32 v15, 52, v52
	v_mov_b32_e32 v48, v53
	v_lshrrev_b32_e32 v53, 20, v4
	v_lshrrev_b16 v63, 12, v6
	v_mov_b32_e32 v50, 0x340
	v_cndmask_b32_e64 v47, v15, v52, s0
	v_lshrrev_b32_e32 v62, 20, v3
	v_mul_lo_u16 v6, v53, 52
	v_mul_lo_u16 v70, v63, 52
	v_mul_u32_u24_sdwa v51, v51, v50 dst_sel:DWORD dst_unused:UNUSED_PAD src0_sel:WORD_0 src1_sel:DWORD
	v_lshlrev_b64 v[48:49], 4, v[47:48]
	v_mul_lo_u16 v69, v62, 52
	s_waitcnt lgkmcnt(2)
	v_add_f64 v[19:20], v[43:44], -v[27:28]
	v_add_f64 v[15:16], v[39:40], -v[23:24]
	;; [unrolled: 1-line block ×4, first 2 shown]
	v_sub_nc_u16 v71, v0, v6
	s_waitcnt lgkmcnt(1)
	v_add_f64 v[23:24], v[7:8], -v[31:32]
	v_add_f64 v[25:26], v[9:10], -v[33:34]
	s_waitcnt lgkmcnt(0)
	v_add_f64 v[27:28], v[11:12], -v[35:36]
	v_sub_nc_u16 v5, v5, v70
	v_add_f64 v[29:30], v[13:14], -v[37:38]
	v_mul_u32_u24_e32 v60, 0x340, v72
	v_mul_u32_u24_e32 v61, 0x340, v73
	s_barrier
	buffer_gl0_inv
	v_lshrrev_b32_e32 v4, 21, v4
	v_lshlrev_b32_e32 v47, 4, v47
	v_fma_f64 v[35:36], v[43:44], 2.0, -v[19:20]
	v_fma_f64 v[31:32], v[39:40], 2.0, -v[15:16]
	v_fma_f64 v[33:34], v[41:42], 2.0, -v[17:18]
	v_fma_f64 v[37:38], v[45:46], 2.0, -v[21:22]
	v_add_co_u32 v39, s0, s8, v48
	v_fma_f64 v[6:7], v[7:8], 2.0, -v[23:24]
	v_fma_f64 v[8:9], v[9:10], 2.0, -v[25:26]
	;; [unrolled: 1-line block ×4, first 2 shown]
	v_mul_u32_u24_sdwa v14, v64, v50 dst_sel:DWORD dst_unused:UNUSED_PAD src0_sel:WORD_0 src1_sel:DWORD
	v_add_co_ci_u32_e64 v40, s0, s9, v49, s0
	v_sub_nc_u16 v41, v1, v69
	v_add3_u32 v42, 0, v51, v65
	v_lshlrev_b32_sdwa v65, v2, v5 dst_sel:DWORD dst_unused:UNUSED_PAD src0_sel:DWORD src1_sel:BYTE_0
	v_add3_u32 v5, 0, v14, v67
	v_lshlrev_b32_sdwa v64, v2, v71 dst_sel:DWORD dst_unused:UNUSED_PAD src0_sel:DWORD src1_sel:WORD_0
	v_add3_u32 v43, 0, v60, v66
	v_add3_u32 v44, 0, v61, v68
	ds_write_b128 v42, v[15:18] offset:416
	ds_write_b128 v42, v[31:34]
	ds_write_b128 v5, v[35:38]
	ds_write_b128 v5, v[19:22] offset:416
	ds_write_b128 v43, v[6:9]
	ds_write_b128 v43, v[23:26] offset:416
	;; [unrolled: 2-line block ×3, first 2 shown]
	s_waitcnt lgkmcnt(0)
	s_barrier
	buffer_gl0_inv
	global_load_dwordx4 v[5:8], v[39:40], off offset:624
	v_lshlrev_b32_sdwa v66, v2, v41 dst_sel:DWORD dst_unused:UNUSED_PAD src0_sel:DWORD src1_sel:WORD_0
	s_clause 0x2
	global_load_dwordx4 v[9:12], v65, s[8:9] offset:624
	global_load_dwordx4 v[13:16], v64, s[8:9] offset:624
	;; [unrolled: 1-line block ×3, first 2 shown]
	ds_read_b128 v[21:24], v76 offset:6656
	ds_read_b128 v[25:28], v76 offset:8320
	;; [unrolled: 1-line block ×4, first 2 shown]
	ds_read_b128 v[37:40], v76
	ds_read_b128 v[41:44], v76 offset:1664
	v_cmp_lt_u32_e64 s0, 51, v52
	s_waitcnt vmcnt(3) lgkmcnt(5)
	v_mul_f64 v[45:46], v[23:24], v[7:8]
	v_mul_f64 v[7:8], v[21:22], v[7:8]
	s_waitcnt vmcnt(2) lgkmcnt(4)
	v_mul_f64 v[48:49], v[27:28], v[11:12]
	v_mul_f64 v[11:12], v[25:26], v[11:12]
	;; [unrolled: 3-line block ×4, first 2 shown]
	v_fma_f64 v[21:22], v[21:22], v[5:6], v[45:46]
	v_fma_f64 v[23:24], v[23:24], v[5:6], -v[7:8]
	v_fma_f64 v[25:26], v[25:26], v[9:10], v[48:49]
	v_fma_f64 v[27:28], v[27:28], v[9:10], -v[11:12]
	v_fma_f64 v[29:30], v[29:30], v[13:14], v[50:51]
	v_fma_f64 v[31:32], v[31:32], v[13:14], -v[15:16]
	v_fma_f64 v[33:34], v[33:34], v[17:18], v[60:61]
	ds_read_b128 v[5:8], v76 offset:3328
	ds_read_b128 v[9:12], v76 offset:4992
	v_fma_f64 v[35:36], v[35:36], v[17:18], -v[19:20]
	v_lshrrev_b32_e32 v48, 21, v3
	v_mul_lo_u16 v49, 0x68, v4
	v_mov_b32_e32 v46, 0x680
	v_cndmask_b32_e64 v45, 0, 0x680, s0
	s_waitcnt lgkmcnt(0)
	s_barrier
	v_sub_nc_u16 v0, v0, v49
	buffer_gl0_inv
	v_lshlrev_b32_sdwa v49, v2, v0 dst_sel:DWORD dst_unused:UNUSED_PAD src0_sel:DWORD src1_sel:WORD_0
	v_add_f64 v[13:14], v[37:38], -v[21:22]
	v_add_f64 v[15:16], v[39:40], -v[23:24]
	;; [unrolled: 1-line block ×8, first 2 shown]
	v_fma_f64 v[29:30], v[37:38], 2.0, -v[13:14]
	v_fma_f64 v[31:32], v[39:40], 2.0, -v[15:16]
	;; [unrolled: 1-line block ×4, first 2 shown]
	v_mul_u32_u24_e32 v37, 0x680, v53
	v_fma_f64 v[3:4], v[5:6], 2.0, -v[21:22]
	v_fma_f64 v[5:6], v[7:8], 2.0, -v[23:24]
	v_fma_f64 v[7:8], v[9:10], 2.0, -v[25:26]
	v_mul_u32_u24_sdwa v41, v63, v46 dst_sel:DWORD dst_unused:UNUSED_PAD src0_sel:WORD_0 src1_sel:DWORD
	v_fma_f64 v[9:10], v[11:12], 2.0, -v[27:28]
	v_mul_lo_u16 v12, 0x68, v48
	v_add_co_u32 v39, s0, s8, v58
	v_add_co_ci_u32_e64 v40, s0, s9, v59, s0
	v_sub_nc_u16 v1, v1, v12
	v_add3_u32 v11, 0, v45, v47
	v_mul_u32_u24_e32 v38, 0x680, v62
	v_add3_u32 v0, 0, v37, v64
	v_add3_u32 v37, 0, v41, v65
	v_lshlrev_b32_sdwa v50, v2, v1 dst_sel:DWORD dst_unused:UNUSED_PAD src0_sel:DWORD src1_sel:WORD_0
	v_add3_u32 v12, 0, v38, v66
	ds_write_b128 v11, v[13:16] offset:832
	ds_write_b128 v11, v[29:32]
	ds_write_b128 v37, v[33:36]
	ds_write_b128 v37, v[17:20] offset:832
	ds_write_b128 v0, v[3:6]
	ds_write_b128 v0, v[21:24] offset:832
	;; [unrolled: 2-line block ×3, first 2 shown]
	s_waitcnt lgkmcnt(0)
	s_barrier
	buffer_gl0_inv
	s_clause 0x2
	global_load_dwordx4 v[3:6], v[39:40], off offset:1456
	global_load_dwordx4 v[7:10], v49, s[8:9] offset:1456
	global_load_dwordx4 v[11:14], v50, s[8:9] offset:1456
	ds_read_b128 v[15:18], v76 offset:6656
	ds_read_b128 v[19:22], v76 offset:8320
	;; [unrolled: 1-line block ×4, first 2 shown]
	ds_read_b128 v[31:34], v76
	ds_read_b128 v[35:38], v76 offset:1664
	s_waitcnt vmcnt(1) lgkmcnt(3)
	v_mul_f64 v[45:46], v[25:26], v[9:10]
	v_mul_f64 v[0:1], v[17:18], v[5:6]
	;; [unrolled: 1-line block ×6, first 2 shown]
	s_waitcnt vmcnt(0) lgkmcnt(2)
	v_mul_f64 v[47:48], v[29:30], v[13:14]
	v_mul_f64 v[13:14], v[27:28], v[13:14]
	v_fma_f64 v[23:24], v[23:24], v[7:8], v[45:46]
	v_fma_f64 v[15:16], v[15:16], v[3:4], v[0:1]
	v_fma_f64 v[17:18], v[17:18], v[3:4], -v[41:42]
	v_fma_f64 v[19:20], v[19:20], v[3:4], v[43:44]
	v_fma_f64 v[21:22], v[21:22], v[3:4], -v[5:6]
	v_fma_f64 v[25:26], v[25:26], v[7:8], -v[9:10]
	v_fma_f64 v[27:28], v[27:28], v[11:12], v[47:48]
	ds_read_b128 v[0:3], v76 offset:3328
	ds_read_b128 v[4:7], v76 offset:4992
	v_fma_f64 v[29:30], v[29:30], v[11:12], -v[13:14]
	s_waitcnt lgkmcnt(0)
	s_barrier
	buffer_gl0_inv
	v_add_f64 v[8:9], v[31:32], -v[15:16]
	v_add_f64 v[10:11], v[33:34], -v[17:18]
	v_add_f64 v[12:13], v[35:36], -v[19:20]
	v_add_f64 v[14:15], v[37:38], -v[21:22]
	v_add_f64 v[16:17], v[0:1], -v[23:24]
	v_add_f64 v[18:19], v[2:3], -v[25:26]
	v_add_f64 v[20:21], v[4:5], -v[27:28]
	v_add_f64 v[22:23], v[6:7], -v[29:30]
	v_fma_f64 v[24:25], v[31:32], 2.0, -v[8:9]
	v_fma_f64 v[26:27], v[33:34], 2.0, -v[10:11]
	;; [unrolled: 1-line block ×7, first 2 shown]
	v_add_co_u32 v38, s0, s8, v56
	v_fma_f64 v[6:7], v[6:7], 2.0, -v[22:23]
	v_add_co_ci_u32_e64 v47, s0, s9, v57, s0
	v_add_co_u32 v32, s0, 0x800, v39
	v_add_co_ci_u32_e64 v33, s0, 0, v40, s0
	v_add_co_u32 v34, s0, 0x1000, v38
	v_add_co_ci_u32_e64 v35, s0, 0, v47, s0
	v_add_nc_u32_e32 v36, 0, v49
	v_add_nc_u32_e32 v37, 0, v50
	ds_write_b128 v76, v[8:11] offset:1664
	ds_write_b128 v76, v[12:15] offset:4992
	ds_write_b128 v76, v[24:27]
	ds_write_b128 v76, v[28:31] offset:3328
	ds_write_b128 v36, v[0:3] offset:6656
	;; [unrolled: 1-line block ×5, first 2 shown]
	s_waitcnt lgkmcnt(0)
	s_barrier
	buffer_gl0_inv
	s_clause 0x1
	global_load_dwordx4 v[0:3], v[32:33], off offset:1072
	global_load_dwordx4 v[4:7], v[34:35], off offset:688
	ds_read_b128 v[8:11], v76 offset:6656
	ds_read_b128 v[12:15], v76 offset:8320
	;; [unrolled: 1-line block ×4, first 2 shown]
	ds_read_b128 v[24:27], v76
	ds_read_b128 v[28:31], v76 offset:1664
	s_waitcnt vmcnt(1) lgkmcnt(5)
	v_mul_f64 v[32:33], v[10:11], v[2:3]
	v_mul_f64 v[34:35], v[8:9], v[2:3]
	s_waitcnt vmcnt(0) lgkmcnt(4)
	v_mul_f64 v[36:37], v[14:15], v[6:7]
	v_mul_f64 v[41:42], v[12:13], v[6:7]
	s_waitcnt lgkmcnt(3)
	v_mul_f64 v[43:44], v[18:19], v[2:3]
	v_mul_f64 v[2:3], v[16:17], v[2:3]
	s_waitcnt lgkmcnt(2)
	v_mul_f64 v[45:46], v[22:23], v[6:7]
	v_mul_f64 v[6:7], v[20:21], v[6:7]
	v_fma_f64 v[8:9], v[8:9], v[0:1], v[32:33]
	v_fma_f64 v[10:11], v[10:11], v[0:1], -v[34:35]
	v_fma_f64 v[12:13], v[12:13], v[4:5], v[36:37]
	v_fma_f64 v[14:15], v[14:15], v[4:5], -v[41:42]
	;; [unrolled: 2-line block ×4, first 2 shown]
	ds_read_b128 v[0:3], v76 offset:3328
	ds_read_b128 v[4:7], v76 offset:4992
	v_add_co_u32 v32, s0, 0x1800, v39
	v_add_co_ci_u32_e64 v33, s0, 0, v40, s0
	v_add_co_u32 v34, s0, 0x1800, v38
	v_add_co_ci_u32_e64 v35, s0, 0, v47, s0
	;; [unrolled: 2-line block ×3, first 2 shown]
	s_waitcnt lgkmcnt(3)
	v_add_f64 v[8:9], v[24:25], -v[8:9]
	v_add_f64 v[10:11], v[26:27], -v[10:11]
	s_waitcnt lgkmcnt(2)
	v_add_f64 v[12:13], v[28:29], -v[12:13]
	v_add_f64 v[14:15], v[30:31], -v[14:15]
	s_waitcnt lgkmcnt(0)
	s_barrier
	v_add_f64 v[16:17], v[0:1], -v[16:17]
	v_add_f64 v[18:19], v[2:3], -v[18:19]
	;; [unrolled: 1-line block ×4, first 2 shown]
	buffer_gl0_inv
	v_fma_f64 v[24:25], v[24:25], 2.0, -v[8:9]
	v_fma_f64 v[26:27], v[26:27], 2.0, -v[10:11]
	;; [unrolled: 1-line block ×8, first 2 shown]
	ds_write_b128 v76, v[8:11] offset:3328
	ds_write_b128 v76, v[12:15] offset:4992
	;; [unrolled: 1-line block ×4, first 2 shown]
	ds_write_b128 v76, v[24:27]
	ds_write_b128 v76, v[28:31] offset:1664
	ds_write_b128 v76, v[0:3] offset:6656
	;; [unrolled: 1-line block ×3, first 2 shown]
	v_add_co_u32 v12, s0, 0x2800, v38
	s_waitcnt lgkmcnt(0)
	s_barrier
	buffer_gl0_inv
	global_load_dwordx4 v[0:3], v[32:33], off offset:304
	v_add_co_ci_u32_e64 v13, s0, 0, v47, s0
	s_clause 0x2
	global_load_dwordx4 v[4:7], v[34:35], off offset:1968
	global_load_dwordx4 v[8:11], v[36:37], off offset:1584
	;; [unrolled: 1-line block ×3, first 2 shown]
	ds_read_b128 v[16:19], v76 offset:6656
	ds_read_b128 v[20:23], v76 offset:8320
	;; [unrolled: 1-line block ×4, first 2 shown]
	ds_read_b128 v[32:35], v76
	ds_read_b128 v[36:39], v76 offset:1664
	s_waitcnt vmcnt(3) lgkmcnt(5)
	v_mul_f64 v[40:41], v[18:19], v[2:3]
	v_mul_f64 v[2:3], v[16:17], v[2:3]
	s_waitcnt vmcnt(2) lgkmcnt(4)
	v_mul_f64 v[42:43], v[22:23], v[6:7]
	v_mul_f64 v[6:7], v[20:21], v[6:7]
	;; [unrolled: 3-line block ×4, first 2 shown]
	v_fma_f64 v[16:17], v[16:17], v[0:1], v[40:41]
	v_fma_f64 v[18:19], v[18:19], v[0:1], -v[2:3]
	v_fma_f64 v[20:21], v[20:21], v[4:5], v[42:43]
	v_fma_f64 v[22:23], v[22:23], v[4:5], -v[6:7]
	;; [unrolled: 2-line block ×4, first 2 shown]
	ds_read_b128 v[0:3], v76 offset:3328
	ds_read_b128 v[4:7], v76 offset:4992
	s_waitcnt lgkmcnt(0)
	s_barrier
	buffer_gl0_inv
	v_add_f64 v[8:9], v[32:33], -v[16:17]
	v_add_f64 v[10:11], v[34:35], -v[18:19]
	v_add_f64 v[12:13], v[36:37], -v[20:21]
	v_add_f64 v[14:15], v[38:39], -v[22:23]
	v_add_f64 v[16:17], v[0:1], -v[24:25]
	v_add_f64 v[18:19], v[2:3], -v[26:27]
	v_add_f64 v[20:21], v[4:5], -v[28:29]
	v_add_f64 v[22:23], v[6:7], -v[30:31]
	v_fma_f64 v[24:25], v[32:33], 2.0, -v[8:9]
	v_fma_f64 v[26:27], v[34:35], 2.0, -v[10:11]
	;; [unrolled: 1-line block ×8, first 2 shown]
	ds_write_b128 v76, v[8:11] offset:6656
	ds_write_b128 v76, v[12:15] offset:8320
	ds_write_b128 v76, v[16:19] offset:9984
	ds_write_b128 v76, v[20:23] offset:11648
	ds_write_b128 v76, v[24:27]
	ds_write_b128 v76, v[28:31] offset:1664
	ds_write_b128 v76, v[0:3] offset:3328
	;; [unrolled: 1-line block ×3, first 2 shown]
	s_waitcnt lgkmcnt(0)
	s_barrier
	buffer_gl0_inv
	s_and_saveexec_b32 s0, vcc_lo
	s_cbranch_execz .LBB0_21
; %bb.20:
	v_lshl_add_u32 v28, v52, 4, 0
	v_mov_b32_e32 v53, 0
	v_add_co_u32 v30, vcc_lo, s2, v54
	v_add_co_ci_u32_e32 v31, vcc_lo, s3, v55, vcc_lo
	ds_read_b128 v[0:3], v28
	v_lshlrev_b64 v[17:18], 4, v[52:53]
	ds_read_b128 v[4:7], v28 offset:1664
	ds_read_b128 v[8:11], v28 offset:3328
	v_add_nc_u32_e32 v12, 0x68, v52
	v_mov_b32_e32 v13, v53
	v_add_nc_u32_e32 v14, 0xd0, v52
	v_mov_b32_e32 v15, v53
	v_add_co_u32 v17, vcc_lo, v30, v17
	v_lshlrev_b64 v[12:13], 4, v[12:13]
	v_add_co_ci_u32_e32 v18, vcc_lo, v31, v18, vcc_lo
	v_add_nc_u32_e32 v16, 0x138, v52
	v_lshlrev_b64 v[14:15], 4, v[14:15]
	v_mov_b32_e32 v19, v53
	v_add_co_u32 v12, vcc_lo, v30, v12
	v_add_co_ci_u32_e32 v13, vcc_lo, v31, v13, vcc_lo
	v_add_co_u32 v14, vcc_lo, v30, v14
	s_waitcnt lgkmcnt(2)
	global_store_dwordx4 v[17:18], v[0:3], off
	v_mov_b32_e32 v17, v53
	v_add_nc_u32_e32 v18, 0x1a0, v52
	s_waitcnt lgkmcnt(1)
	global_store_dwordx4 v[12:13], v[4:7], off
	v_add_co_ci_u32_e32 v15, vcc_lo, v31, v15, vcc_lo
	v_lshlrev_b64 v[16:17], 4, v[16:17]
	v_lshlrev_b64 v[4:5], 4, v[18:19]
	v_add_nc_u32_e32 v12, 0x208, v52
	v_mov_b32_e32 v13, v53
	s_waitcnt lgkmcnt(0)
	global_store_dwordx4 v[14:15], v[8:11], off
	ds_read_b128 v[0:3], v28 offset:4992
	v_add_co_u32 v20, vcc_lo, v30, v16
	v_add_co_ci_u32_e32 v21, vcc_lo, v31, v17, vcc_lo
	v_add_co_u32 v22, vcc_lo, v30, v4
	v_add_co_ci_u32_e32 v23, vcc_lo, v31, v5, vcc_lo
	ds_read_b128 v[4:7], v28 offset:6656
	ds_read_b128 v[8:11], v28 offset:8320
	v_lshlrev_b64 v[26:27], 4, v[12:13]
	ds_read_b128 v[12:15], v28 offset:9984
	ds_read_b128 v[16:19], v28 offset:11648
	v_add_nc_u32_e32 v24, 0x270, v52
	v_mov_b32_e32 v25, v53
	v_add_nc_u32_e32 v52, 0x2d8, v52
	v_add_co_u32 v26, vcc_lo, v30, v26
	v_lshlrev_b64 v[24:25], 4, v[24:25]
	v_lshlrev_b64 v[28:29], 4, v[52:53]
	v_add_co_ci_u32_e32 v27, vcc_lo, v31, v27, vcc_lo
	v_add_co_u32 v24, vcc_lo, v30, v24
	v_add_co_ci_u32_e32 v25, vcc_lo, v31, v25, vcc_lo
	v_add_co_u32 v28, vcc_lo, v30, v28
	v_add_co_ci_u32_e32 v29, vcc_lo, v31, v29, vcc_lo
	s_waitcnt lgkmcnt(4)
	global_store_dwordx4 v[20:21], v[0:3], off
	s_waitcnt lgkmcnt(3)
	global_store_dwordx4 v[22:23], v[4:7], off
	;; [unrolled: 2-line block ×5, first 2 shown]
.LBB0_21:
	s_endpgm
	.section	.rodata,"a",@progbits
	.p2align	6, 0x0
	.amdhsa_kernel fft_rtc_back_len832_factors_13_2_2_2_2_2_2_wgs_104_tpt_104_halfLds_dp_ip_CI_unitstride_sbrr_C2R_dirReg
		.amdhsa_group_segment_fixed_size 0
		.amdhsa_private_segment_fixed_size 0
		.amdhsa_kernarg_size 88
		.amdhsa_user_sgpr_count 6
		.amdhsa_user_sgpr_private_segment_buffer 1
		.amdhsa_user_sgpr_dispatch_ptr 0
		.amdhsa_user_sgpr_queue_ptr 0
		.amdhsa_user_sgpr_kernarg_segment_ptr 1
		.amdhsa_user_sgpr_dispatch_id 0
		.amdhsa_user_sgpr_flat_scratch_init 0
		.amdhsa_user_sgpr_private_segment_size 0
		.amdhsa_wavefront_size32 1
		.amdhsa_uses_dynamic_stack 0
		.amdhsa_system_sgpr_private_segment_wavefront_offset 0
		.amdhsa_system_sgpr_workgroup_id_x 1
		.amdhsa_system_sgpr_workgroup_id_y 0
		.amdhsa_system_sgpr_workgroup_id_z 0
		.amdhsa_system_sgpr_workgroup_info 0
		.amdhsa_system_vgpr_workitem_id 0
		.amdhsa_next_free_vgpr 133
		.amdhsa_next_free_sgpr 40
		.amdhsa_reserve_vcc 1
		.amdhsa_reserve_flat_scratch 0
		.amdhsa_float_round_mode_32 0
		.amdhsa_float_round_mode_16_64 0
		.amdhsa_float_denorm_mode_32 3
		.amdhsa_float_denorm_mode_16_64 3
		.amdhsa_dx10_clamp 1
		.amdhsa_ieee_mode 1
		.amdhsa_fp16_overflow 0
		.amdhsa_workgroup_processor_mode 1
		.amdhsa_memory_ordered 1
		.amdhsa_forward_progress 0
		.amdhsa_shared_vgpr_count 0
		.amdhsa_exception_fp_ieee_invalid_op 0
		.amdhsa_exception_fp_denorm_src 0
		.amdhsa_exception_fp_ieee_div_zero 0
		.amdhsa_exception_fp_ieee_overflow 0
		.amdhsa_exception_fp_ieee_underflow 0
		.amdhsa_exception_fp_ieee_inexact 0
		.amdhsa_exception_int_div_zero 0
	.end_amdhsa_kernel
	.text
.Lfunc_end0:
	.size	fft_rtc_back_len832_factors_13_2_2_2_2_2_2_wgs_104_tpt_104_halfLds_dp_ip_CI_unitstride_sbrr_C2R_dirReg, .Lfunc_end0-fft_rtc_back_len832_factors_13_2_2_2_2_2_2_wgs_104_tpt_104_halfLds_dp_ip_CI_unitstride_sbrr_C2R_dirReg
                                        ; -- End function
	.section	.AMDGPU.csdata,"",@progbits
; Kernel info:
; codeLenInByte = 10368
; NumSgprs: 42
; NumVgprs: 133
; ScratchSize: 0
; MemoryBound: 0
; FloatMode: 240
; IeeeMode: 1
; LDSByteSize: 0 bytes/workgroup (compile time only)
; SGPRBlocks: 5
; VGPRBlocks: 16
; NumSGPRsForWavesPerEU: 42
; NumVGPRsForWavesPerEU: 133
; Occupancy: 7
; WaveLimiterHint : 1
; COMPUTE_PGM_RSRC2:SCRATCH_EN: 0
; COMPUTE_PGM_RSRC2:USER_SGPR: 6
; COMPUTE_PGM_RSRC2:TRAP_HANDLER: 0
; COMPUTE_PGM_RSRC2:TGID_X_EN: 1
; COMPUTE_PGM_RSRC2:TGID_Y_EN: 0
; COMPUTE_PGM_RSRC2:TGID_Z_EN: 0
; COMPUTE_PGM_RSRC2:TIDIG_COMP_CNT: 0
	.text
	.p2alignl 6, 3214868480
	.fill 48, 4, 3214868480
	.type	__hip_cuid_57ffe714281a2e42,@object ; @__hip_cuid_57ffe714281a2e42
	.section	.bss,"aw",@nobits
	.globl	__hip_cuid_57ffe714281a2e42
__hip_cuid_57ffe714281a2e42:
	.byte	0                               ; 0x0
	.size	__hip_cuid_57ffe714281a2e42, 1

	.ident	"AMD clang version 19.0.0git (https://github.com/RadeonOpenCompute/llvm-project roc-6.4.0 25133 c7fe45cf4b819c5991fe208aaa96edf142730f1d)"
	.section	".note.GNU-stack","",@progbits
	.addrsig
	.addrsig_sym __hip_cuid_57ffe714281a2e42
	.amdgpu_metadata
---
amdhsa.kernels:
  - .args:
      - .actual_access:  read_only
        .address_space:  global
        .offset:         0
        .size:           8
        .value_kind:     global_buffer
      - .offset:         8
        .size:           8
        .value_kind:     by_value
      - .actual_access:  read_only
        .address_space:  global
        .offset:         16
        .size:           8
        .value_kind:     global_buffer
      - .actual_access:  read_only
        .address_space:  global
        .offset:         24
        .size:           8
        .value_kind:     global_buffer
      - .offset:         32
        .size:           8
        .value_kind:     by_value
      - .actual_access:  read_only
        .address_space:  global
        .offset:         40
        .size:           8
        .value_kind:     global_buffer
      - .actual_access:  read_only
        .address_space:  global
        .offset:         48
        .size:           8
        .value_kind:     global_buffer
      - .offset:         56
        .size:           4
        .value_kind:     by_value
      - .actual_access:  read_only
        .address_space:  global
        .offset:         64
        .size:           8
        .value_kind:     global_buffer
      - .actual_access:  read_only
        .address_space:  global
        .offset:         72
        .size:           8
        .value_kind:     global_buffer
      - .address_space:  global
        .offset:         80
        .size:           8
        .value_kind:     global_buffer
    .group_segment_fixed_size: 0
    .kernarg_segment_align: 8
    .kernarg_segment_size: 88
    .language:       OpenCL C
    .language_version:
      - 2
      - 0
    .max_flat_workgroup_size: 104
    .name:           fft_rtc_back_len832_factors_13_2_2_2_2_2_2_wgs_104_tpt_104_halfLds_dp_ip_CI_unitstride_sbrr_C2R_dirReg
    .private_segment_fixed_size: 0
    .sgpr_count:     42
    .sgpr_spill_count: 0
    .symbol:         fft_rtc_back_len832_factors_13_2_2_2_2_2_2_wgs_104_tpt_104_halfLds_dp_ip_CI_unitstride_sbrr_C2R_dirReg.kd
    .uniform_work_group_size: 1
    .uses_dynamic_stack: false
    .vgpr_count:     133
    .vgpr_spill_count: 0
    .wavefront_size: 32
    .workgroup_processor_mode: 1
amdhsa.target:   amdgcn-amd-amdhsa--gfx1030
amdhsa.version:
  - 1
  - 2
...

	.end_amdgpu_metadata
